;; amdgpu-corpus repo=ROCm/rocFFT kind=compiled arch=gfx1030 opt=O3
	.text
	.amdgcn_target "amdgcn-amd-amdhsa--gfx1030"
	.amdhsa_code_object_version 6
	.protected	bluestein_single_back_len35_dim1_half_op_CI_CI ; -- Begin function bluestein_single_back_len35_dim1_half_op_CI_CI
	.globl	bluestein_single_back_len35_dim1_half_op_CI_CI
	.p2align	8
	.type	bluestein_single_back_len35_dim1_half_op_CI_CI,@function
bluestein_single_back_len35_dim1_half_op_CI_CI: ; @bluestein_single_back_len35_dim1_half_op_CI_CI
; %bb.0:
	s_load_dwordx4 s[8:11], s[4:5], 0x28
	v_mul_u32_u24_e32 v1, 0x2493, v0
	s_mov_b32 s0, exec_lo
	v_lshrrev_b32_e32 v1, 16, v1
	v_mad_u64_u32 v[4:5], null, s6, 36, v[1:2]
	v_mov_b32_e32 v5, 0
	s_waitcnt lgkmcnt(0)
	v_cmpx_gt_u64_e64 s[8:9], v[4:5]
	s_cbranch_execz .LBB0_10
; %bb.1:
	s_clause 0x1
	s_load_dwordx4 s[0:3], s[4:5], 0x18
	s_load_dwordx4 s[12:15], s[4:5], 0x0
	v_mul_lo_u16 v1, v1, 7
                                        ; implicit-def: $vgpr29
                                        ; implicit-def: $vgpr30
                                        ; implicit-def: $vgpr31
	v_sub_nc_u16 v8, v0, v1
	v_and_b32_e32 v18, 0xffff, v8
	v_lshlrev_b32_e32 v23, 2, v18
	s_waitcnt lgkmcnt(0)
	s_load_dwordx4 s[16:19], s[0:1], 0x0
	s_clause 0x1
	global_load_dword v21, v23, s[12:13]
	global_load_dword v20, v23, s[12:13] offset:28
	s_waitcnt lgkmcnt(0)
	v_mad_u64_u32 v[0:1], null, s18, v4, 0
	v_mad_u64_u32 v[2:3], null, s16, v18, 0
	s_mul_i32 s0, s17, 28
	s_mul_hi_u32 s1, s16, 28
	s_mul_i32 s6, s16, 28
	s_add_i32 s1, s1, s0
	v_mad_u64_u32 v[5:6], null, s19, v4, v[1:2]
	v_mad_u64_u32 v[6:7], null, s17, v18, v[3:4]
	v_mov_b32_e32 v1, v5
	v_mov_b32_e32 v3, v6
	v_lshlrev_b64 v[0:1], 2, v[0:1]
	v_lshlrev_b64 v[2:3], 2, v[2:3]
	v_add_co_u32 v0, vcc_lo, s10, v0
	v_add_co_ci_u32_e32 v1, vcc_lo, s11, v1, vcc_lo
	v_add_co_u32 v0, vcc_lo, v0, v2
	v_add_co_ci_u32_e32 v1, vcc_lo, v1, v3, vcc_lo
	;; [unrolled: 2-line block ×3, first 2 shown]
	s_clause 0x1
	global_load_dword v5, v[0:1], off
	global_load_dword v6, v[2:3], off
	v_add_co_u32 v0, vcc_lo, v2, s6
	v_add_co_ci_u32_e32 v1, vcc_lo, s1, v3, vcc_lo
	v_add_co_u32 v2, vcc_lo, v0, s6
	v_add_co_ci_u32_e32 v3, vcc_lo, s1, v1, vcc_lo
	global_load_dword v7, v[0:1], off
	v_add_co_u32 v0, vcc_lo, v2, s6
	v_add_co_ci_u32_e32 v1, vcc_lo, s1, v3, vcc_lo
	global_load_dword v19, v23, s[12:13] offset:56
	s_clause 0x1
	global_load_dword v2, v[2:3], off
	global_load_dword v0, v[0:1], off
	s_clause 0x1
	global_load_dword v16, v23, s[12:13] offset:84
	global_load_dword v15, v23, s[12:13] offset:112
	v_mul_hi_u32 v1, 0x38e38e39, v4
	s_load_dwordx4 s[8:11], s[2:3], 0x0
	v_cmp_gt_u16_e32 vcc_lo, 5, v8
	s_load_dwordx2 s[2:3], s[4:5], 0x38
	v_lshrrev_b32_e32 v1, 3, v1
	v_mul_lo_u32 v1, v1, 36
	v_sub_nc_u32_e32 v1, v4, v1
	v_mul_u32_u24_e32 v1, 35, v1
	v_lshlrev_b32_e32 v22, 2, v1
	v_add_nc_u32_e32 v17, v23, v22
	s_waitcnt vmcnt(7)
	v_lshrrev_b32_e32 v3, 16, v5
	v_mul_f16_sdwa v1, v21, v5 dst_sel:DWORD dst_unused:UNUSED_PAD src0_sel:WORD_1 src1_sel:DWORD
	s_waitcnt vmcnt(6)
	v_lshrrev_b32_e32 v9, 16, v6
	v_mul_f16_sdwa v11, v20, v6 dst_sel:DWORD dst_unused:UNUSED_PAD src0_sel:WORD_1 src1_sel:DWORD
	v_mul_f16_sdwa v10, v21, v3 dst_sel:DWORD dst_unused:UNUSED_PAD src0_sel:WORD_1 src1_sel:DWORD
	v_fma_f16 v1, v21, v3, -v1
	v_mul_f16_sdwa v3, v20, v9 dst_sel:DWORD dst_unused:UNUSED_PAD src0_sel:WORD_1 src1_sel:DWORD
	v_fma_f16 v9, v20, v9, -v11
	v_fmac_f16_e32 v10, v21, v5
	s_waitcnt vmcnt(5)
	v_lshrrev_b32_e32 v5, 16, v7
	v_fmac_f16_e32 v3, v20, v6
	s_waitcnt vmcnt(4)
	v_mul_f16_sdwa v11, v19, v7 dst_sel:DWORD dst_unused:UNUSED_PAD src0_sel:WORD_1 src1_sel:DWORD
	s_waitcnt vmcnt(3)
	v_lshrrev_b32_e32 v6, 16, v2
	s_waitcnt vmcnt(2)
	v_lshrrev_b32_e32 v13, 16, v0
	v_mul_f16_sdwa v12, v19, v5 dst_sel:DWORD dst_unused:UNUSED_PAD src0_sel:WORD_1 src1_sel:DWORD
	s_waitcnt vmcnt(0)
	v_mul_f16_sdwa v24, v15, v0 dst_sel:DWORD dst_unused:UNUSED_PAD src0_sel:WORD_1 src1_sel:DWORD
	v_fma_f16 v5, v19, v5, -v11
	v_mul_f16_sdwa v11, v16, v2 dst_sel:DWORD dst_unused:UNUSED_PAD src0_sel:WORD_1 src1_sel:DWORD
	v_mul_f16_sdwa v14, v16, v6 dst_sel:DWORD dst_unused:UNUSED_PAD src0_sel:WORD_1 src1_sel:DWORD
	;; [unrolled: 1-line block ×3, first 2 shown]
	v_fmac_f16_e32 v12, v19, v7
	v_fma_f16 v6, v16, v6, -v11
	v_fmac_f16_e32 v14, v16, v2
	v_fma_f16 v2, v15, v13, -v24
	v_fmac_f16_e32 v25, v15, v0
	v_pack_b32_f16 v0, v10, v1
	v_pack_b32_f16 v1, v3, v9
	;; [unrolled: 1-line block ×5, first 2 shown]
	ds_write2_b32 v17, v0, v1 offset1:7
	ds_write2_b32 v17, v3, v5 offset0:14 offset1:21
	ds_write_b32 v17, v2 offset:112
	s_waitcnt lgkmcnt(0)
	s_barrier
	buffer_gl0_inv
	ds_read2_b32 v[0:1], v17 offset1:7
	ds_read_b32 v5, v17 offset:112
	ds_read2_b32 v[2:3], v17 offset0:14 offset1:21
	v_mul_lo_u16 v6, v8, 5
	v_add_co_u32 v9, s0, s12, v23
	v_add_co_ci_u32_e64 v10, null, s13, 0, s0
	v_and_b32_e32 v6, 0xffff, v6
	s_waitcnt lgkmcnt(0)
	s_barrier
	buffer_gl0_inv
	v_lshl_add_u32 v24, v6, 2, v22
	v_pk_add_f16 v6, v0, v1
	v_pk_add_f16 v7, v1, v5 neg_lo:[0,1] neg_hi:[0,1]
	v_pk_add_f16 v11, v1, v5
	v_pk_add_f16 v14, v2, v3
	v_pk_add_f16 v8, v2, v3 neg_lo:[0,1] neg_hi:[0,1]
	v_pk_add_f16 v12, v2, v1 neg_lo:[0,1] neg_hi:[0,1]
	;; [unrolled: 1-line block ×5, first 2 shown]
	v_pk_add_f16 v2, v6, v2
	v_pk_fma_f16 v6, v11, 0.5, v0 op_sel_hi:[1,0,1] neg_lo:[1,0,0] neg_hi:[1,0,0]
	v_pk_fma_f16 v0, v14, 0.5, v0 op_sel_hi:[1,0,1] neg_lo:[1,0,0] neg_hi:[1,0,0]
	v_pk_mul_f16 v11, 0x3b9c, v7 op_sel_hi:[0,1]
	v_pk_add_f16 v12, v12, v13
	v_pk_add_f16 v1, v1, v25
	v_pk_mul_f16 v13, 0x38b4, v8 op_sel_hi:[0,1]
	v_pk_fma_f16 v14, 0x3b9c, v8, v6 op_sel:[0,0,1] op_sel_hi:[0,1,0] neg_lo:[0,1,0] neg_hi:[0,1,0]
	v_pk_add_f16 v25, v0, v11 op_sel:[0,1] op_sel_hi:[1,0]
	v_pk_add_f16 v0, v0, v11 op_sel:[0,1] op_sel_hi:[1,0] neg_lo:[0,1] neg_hi:[0,1]
	v_pk_fma_f16 v6, 0x3b9c, v8, v6 op_sel:[0,0,1] op_sel_hi:[0,1,0]
	v_pk_mul_f16 v11, 0x34f2, v12 op_sel_hi:[0,1]
	v_pk_fma_f16 v8, 0x38b4, v7, v14 op_sel_hi:[0,1,1]
	v_pk_add_f16 v12, v13, v25 op_sel:[1,0] op_sel_hi:[0,1]
	v_pk_add_f16 v0, v0, v13 op_sel:[0,1] op_sel_hi:[1,0] neg_lo:[0,1] neg_hi:[0,1]
	v_pk_fma_f16 v6, 0x38b4, v7, v6 op_sel_hi:[0,1,1] neg_lo:[0,1,0] neg_hi:[0,1,0]
	v_pk_add_f16 v2, v2, v3
	v_pk_add_f16 v25, v11, v8 op_sel:[1,0] op_sel_hi:[0,1]
	v_pk_fma_f16 v8, 0x34f2, v1, v12 op_sel_hi:[0,1,1]
	v_pk_fma_f16 v3, 0x34f2, v1, v0 op_sel_hi:[0,1,1]
	v_bfi_b32 v0, 0xffff, v0, v12
	v_pk_add_f16 v26, v11, v6 op_sel:[1,0] op_sel_hi:[0,1]
	v_pk_add_f16 v7, v2, v5
	v_lshrrev_b32_e32 v11, 16, v25
	v_bfi_b32 v2, 0xffff, v8, v3
	v_pk_fma_f16 v13, 0x34f2, v1, v0 op_sel_hi:[0,1,1]
	v_lshrrev_b32_e32 v28, 16, v3
	v_lshrrev_b32_e32 v12, 16, v26
	v_alignbit_b32 v5, v25, v26, 16
	v_alignbit_b32 v6, v26, v25, 16
	v_lshrrev_b32_e32 v27, 16, v13
	ds_write2_b32 v24, v7, v2 offset1:1
	ds_write2_b32 v24, v6, v5 offset0:2 offset1:3
	ds_write_b32 v24, v13 offset:16
	s_waitcnt lgkmcnt(0)
	s_barrier
	buffer_gl0_inv
	s_and_saveexec_b32 s0, vcc_lo
	s_cbranch_execz .LBB0_3
; %bb.2:
	ds_read2_b32 v[7:8], v17 offset1:5
	ds_read2_b32 v[11:12], v17 offset0:10 offset1:15
	ds_read2_b32 v[13:14], v17 offset0:20 offset1:25
	ds_read_b32 v30, v17 offset:120
	s_waitcnt lgkmcnt(3)
	v_lshrrev_b32_e32 v28, 16, v8
	s_waitcnt lgkmcnt(2)
	v_lshrrev_b32_e32 v26, 16, v11
	v_lshrrev_b32_e32 v25, 16, v12
	s_waitcnt lgkmcnt(1)
	v_lshrrev_b32_e32 v27, 16, v13
	;; [unrolled: 3-line block ×3, first 2 shown]
.LBB0_3:
	s_or_b32 exec_lo, exec_lo, s0
	v_add_nc_u32_e32 v0, -5, v18
	v_cndmask_b32_e32 v0, v0, v18, vcc_lo
	v_mul_hi_i32_i24_e32 v1, 6, v0
	v_mul_i32_i24_e32 v0, 6, v0
	v_lshlrev_b64 v[0:1], 2, v[0:1]
	v_add_co_u32 v5, s0, s14, v0
	v_add_co_ci_u32_e64 v6, s0, s15, v1, s0
	s_clause 0x1
	global_load_dwordx4 v[0:3], v[5:6], off
	global_load_dwordx2 v[5:6], v[5:6], off offset:16
	s_waitcnt vmcnt(1)
	v_mul_f16_sdwa v32, v28, v0 dst_sel:DWORD dst_unused:UNUSED_PAD src0_sel:DWORD src1_sel:WORD_1
	v_mul_f16_sdwa v33, v8, v0 dst_sel:DWORD dst_unused:UNUSED_PAD src0_sel:DWORD src1_sel:WORD_1
	;; [unrolled: 1-line block ×5, first 2 shown]
	s_waitcnt vmcnt(0)
	v_mul_f16_sdwa v40, v29, v5 dst_sel:DWORD dst_unused:UNUSED_PAD src0_sel:DWORD src1_sel:WORD_1
	v_mul_f16_sdwa v41, v14, v5 dst_sel:DWORD dst_unused:UNUSED_PAD src0_sel:DWORD src1_sel:WORD_1
	;; [unrolled: 1-line block ×7, first 2 shown]
	v_fma_f16 v8, v8, v0, -v32
	v_fmac_f16_e32 v33, v28, v0
	v_fma_f16 v11, v11, v1, -v34
	v_fmac_f16_e32 v35, v26, v1
	v_fmac_f16_e32 v37, v25, v2
	v_fma_f16 v25, v30, v6, -v42
	v_fmac_f16_e32 v43, v31, v6
	v_fma_f16 v14, v14, v5, -v40
	;; [unrolled: 2-line block ×3, first 2 shown]
	v_fma_f16 v13, v13, v3, -v38
	v_fmac_f16_e32 v39, v27, v3
	v_add_f16_e32 v27, v8, v25
	v_add_f16_e32 v28, v33, v43
	v_add_f16_e32 v29, v11, v14
	v_add_f16_e32 v30, v35, v41
	v_sub_f16_e32 v8, v8, v25
	v_sub_f16_e32 v25, v33, v43
	v_sub_f16_e32 v14, v11, v14
	v_sub_f16_e32 v31, v35, v41
	v_add_f16_e32 v32, v12, v13
	v_add_f16_e32 v33, v37, v39
	v_sub_f16_e32 v12, v13, v12
	v_sub_f16_e32 v13, v39, v37
	v_add_f16_e32 v34, v29, v27
	v_add_f16_e32 v35, v30, v28
	v_sub_f16_e32 v11, v29, v27
	v_sub_f16_e32 v26, v30, v28
	;; [unrolled: 1-line block ×6, first 2 shown]
	v_add_f16_e32 v29, v12, v14
	v_add_f16_e32 v30, v13, v31
	v_sub_f16_e32 v38, v12, v14
	v_sub_f16_e32 v39, v13, v31
	;; [unrolled: 1-line block ×5, first 2 shown]
	v_add_f16_e32 v41, v32, v34
	v_add_f16_e32 v42, v33, v35
	v_sub_f16_e32 v13, v25, v13
	v_add_f16_e32 v33, v29, v8
	v_add_f16_e32 v34, v30, v25
	v_mul_f16_e32 v8, 0x3a52, v36
	v_mul_f16_e32 v25, 0x3a52, v37
	;; [unrolled: 1-line block ×6, first 2 shown]
	v_add_f16_e32 v12, v7, v41
	v_add_f16_sdwa v7, v7, v42 dst_sel:DWORD dst_unused:UNUSED_PAD src0_sel:WORD_1 src1_sel:DWORD
	v_fmamk_f16 v14, v27, 0x2b26, v8
	v_fmamk_f16 v43, v28, 0x2b26, v25
	v_fma_f16 v8, v11, 0xb9e0, -v8
	v_fma_f16 v25, v26, 0xb9e0, -v25
	v_fmamk_f16 v29, v40, 0x3574, v35
	v_fmamk_f16 v30, v13, 0x3574, v32
	v_fma_f16 v37, v40, 0xb574, -v38
	v_fma_f16 v31, v13, 0xb574, -v36
	v_fmamk_f16 v39, v41, 0xbcab, v12
	v_fmamk_f16 v40, v42, 0xbcab, v7
	v_fmac_f16_e32 v29, 0x370e, v33
	v_fmac_f16_e32 v30, 0x370e, v34
	;; [unrolled: 1-line block ×4, first 2 shown]
	v_add_f16_e32 v41, v8, v39
	v_add_f16_e32 v44, v25, v40
	v_add_f16_e32 v42, v14, v39
	v_add_f16_e32 v43, v43, v40
	v_sub_f16_e32 v8, v41, v31
	v_add_f16_e32 v13, v37, v44
	v_sub_f16_e32 v14, v42, v30
	v_add_f16_e32 v25, v29, v43
	s_and_saveexec_b32 s0, vcc_lo
	s_cbranch_execz .LBB0_5
; %bb.4:
	v_mul_f16_e32 v28, 0x2b26, v28
	v_mul_f16_e32 v26, 0x39e0, v26
	;; [unrolled: 1-line block ×6, first 2 shown]
	v_sub_f16_e32 v26, v26, v28
	v_sub_f16_e32 v28, v38, v35
	;; [unrolled: 1-line block ×5, first 2 shown]
	v_add_f16_e32 v26, v26, v40
	v_add_f16_e32 v27, v33, v28
	;; [unrolled: 1-line block ×6, first 2 shown]
	v_sub_f16_e32 v32, v26, v27
	v_add_f16_e32 v26, v27, v26
	v_sub_f16_e32 v27, v44, v37
	v_add_f16_e32 v33, v28, v11
	v_sub_f16_e32 v11, v11, v28
	v_perm_b32 v7, v7, v12, 0x5040100
	v_lshl_add_u32 v12, v18, 2, v22
	v_pack_b32_f16 v28, v30, v29
	v_pack_b32_f16 v27, v31, v27
	;; [unrolled: 1-line block ×4, first 2 shown]
	v_perm_b32 v29, v13, v8, 0x5040100
	v_perm_b32 v30, v25, v14, 0x5040100
	ds_write_b32 v17, v7
	ds_write2_b32 v12, v28, v27 offset0:5 offset1:10
	ds_write2_b32 v12, v11, v26 offset0:15 offset1:20
	ds_write2_b32 v12, v29, v30 offset0:25 offset1:30
.LBB0_5:
	s_or_b32 exec_lo, exec_lo, s0
	s_waitcnt lgkmcnt(0)
	s_barrier
	buffer_gl0_inv
	global_load_dword v7, v[9:10], off offset:140
	s_add_u32 s0, s12, 0x8c
	s_addc_u32 s1, s13, 0
	s_clause 0x3
	global_load_dword v26, v23, s[0:1] offset:28
	global_load_dword v27, v23, s[0:1] offset:112
	;; [unrolled: 1-line block ×4, first 2 shown]
	ds_read2_b32 v[9:10], v17 offset1:7
	s_waitcnt lgkmcnt(0)
	v_lshrrev_b32_e32 v11, 16, v9
	s_waitcnt vmcnt(4)
	v_mul_f16_sdwa v12, v11, v7 dst_sel:DWORD dst_unused:UNUSED_PAD src0_sel:DWORD src1_sel:WORD_1
	v_mul_f16_sdwa v29, v9, v7 dst_sel:DWORD dst_unused:UNUSED_PAD src0_sel:DWORD src1_sel:WORD_1
	s_waitcnt vmcnt(3)
	v_mul_f16_sdwa v31, v10, v26 dst_sel:DWORD dst_unused:UNUSED_PAD src0_sel:DWORD src1_sel:WORD_1
	v_fma_f16 v9, v9, v7, -v12
	v_fmac_f16_e32 v29, v11, v7
	ds_read_b32 v7, v17 offset:112
	v_pack_b32_f16 v9, v9, v29
	ds_write_b32 v17, v9
	ds_read2_b32 v[11:12], v17 offset0:14 offset1:21
	v_lshrrev_b32_e32 v9, 16, v10
	v_mul_f16_sdwa v30, v9, v26 dst_sel:DWORD dst_unused:UNUSED_PAD src0_sel:DWORD src1_sel:WORD_1
	v_fmac_f16_e32 v31, v9, v26
	s_waitcnt lgkmcnt(2)
	v_lshrrev_b32_e32 v29, 16, v7
	v_fma_f16 v10, v10, v26, -v30
	s_waitcnt vmcnt(2)
	v_mul_f16_sdwa v33, v7, v27 dst_sel:DWORD dst_unused:UNUSED_PAD src0_sel:DWORD src1_sel:WORD_1
	v_mul_f16_sdwa v32, v29, v27 dst_sel:DWORD dst_unused:UNUSED_PAD src0_sel:DWORD src1_sel:WORD_1
	v_pack_b32_f16 v10, v10, v31
	v_fmac_f16_e32 v33, v29, v27
	s_waitcnt lgkmcnt(0)
	v_lshrrev_b32_e32 v9, 16, v11
	v_lshrrev_b32_e32 v26, 16, v12
	s_waitcnt vmcnt(1)
	v_mul_f16_sdwa v30, v11, v28 dst_sel:DWORD dst_unused:UNUSED_PAD src0_sel:DWORD src1_sel:WORD_1
	v_fma_f16 v7, v7, v27, -v32
	s_waitcnt vmcnt(0)
	v_mul_f16_sdwa v32, v12, v23 dst_sel:DWORD dst_unused:UNUSED_PAD src0_sel:DWORD src1_sel:WORD_1
	v_mul_f16_sdwa v34, v9, v28 dst_sel:DWORD dst_unused:UNUSED_PAD src0_sel:DWORD src1_sel:WORD_1
	v_mul_f16_sdwa v35, v26, v23 dst_sel:DWORD dst_unused:UNUSED_PAD src0_sel:DWORD src1_sel:WORD_1
	v_fmac_f16_e32 v30, v9, v28
	v_pack_b32_f16 v7, v7, v33
	v_fmac_f16_e32 v32, v26, v23
	v_fma_f16 v9, v11, v28, -v34
	v_fma_f16 v11, v12, v23, -v35
	v_pack_b32_f16 v9, v9, v30
	v_pack_b32_f16 v11, v11, v32
	ds_write2_b32 v17, v10, v9 offset0:7 offset1:14
	ds_write2_b32 v17, v11, v7 offset0:21 offset1:28
	s_waitcnt lgkmcnt(0)
	s_barrier
	buffer_gl0_inv
	ds_read2_b32 v[9:10], v17 offset1:7
	ds_read_b32 v7, v17 offset:112
	ds_read2_b32 v[11:12], v17 offset0:14 offset1:21
	s_waitcnt lgkmcnt(0)
	s_barrier
	buffer_gl0_inv
	v_pk_add_f16 v23, v9, v10
	v_pk_add_f16 v26, v10, v7 neg_lo:[0,1] neg_hi:[0,1]
	v_pk_add_f16 v28, v10, v7
	v_pk_add_f16 v31, v11, v12
	v_pk_add_f16 v27, v11, v12 neg_lo:[0,1] neg_hi:[0,1]
	v_pk_add_f16 v29, v11, v10 neg_lo:[0,1] neg_hi:[0,1]
	;; [unrolled: 1-line block ×5, first 2 shown]
	v_pk_add_f16 v11, v23, v11
	v_pk_fma_f16 v23, v28, 0.5, v9 op_sel_hi:[1,0,1] neg_lo:[1,0,0] neg_hi:[1,0,0]
	v_pk_fma_f16 v9, v31, 0.5, v9 op_sel_hi:[1,0,1] neg_lo:[1,0,0] neg_hi:[1,0,0]
	v_pk_mul_f16 v28, 0x3b9c, v26 op_sel_hi:[0,1]
	v_pk_add_f16 v29, v29, v30
	v_pk_add_f16 v30, v10, v32
	v_pk_mul_f16 v10, 0x38b4, v27 op_sel_hi:[0,1]
	v_pk_fma_f16 v31, 0x3b9c, v27, v23 op_sel:[0,0,1] op_sel_hi:[0,1,0]
	v_pk_add_f16 v32, v9, v28 op_sel:[0,1] op_sel_hi:[1,0] neg_lo:[0,1] neg_hi:[0,1]
	v_pk_add_f16 v9, v28, v9 op_sel:[1,0] op_sel_hi:[0,1]
	v_pk_fma_f16 v23, 0x3b9c, v27, v23 op_sel:[0,0,1] op_sel_hi:[0,1,0] neg_lo:[0,1,0] neg_hi:[0,1,0]
	v_pk_mul_f16 v27, 0x34f2, v29 op_sel_hi:[0,1]
	v_pk_fma_f16 v28, 0x38b4, v26, v31 op_sel_hi:[0,1,1] neg_lo:[0,1,0] neg_hi:[0,1,0]
	v_pk_add_f16 v29, v32, v10 op_sel:[0,1] op_sel_hi:[1,0] neg_lo:[0,1] neg_hi:[0,1]
	v_pk_add_f16 v31, v10, v9 op_sel:[1,0] op_sel_hi:[0,1]
	v_pk_fma_f16 v9, 0x38b4, v26, v23 op_sel_hi:[0,1,1]
	v_pk_add_f16 v11, v11, v12
	v_pk_add_f16 v23, v27, v28 op_sel:[1,0] op_sel_hi:[0,1]
	v_pk_fma_f16 v10, 0x34f2, v30, v29 op_sel_hi:[0,1,1]
	v_pk_fma_f16 v12, 0x34f2, v30, v31 op_sel_hi:[0,1,1]
	v_pk_add_f16 v26, v27, v9 op_sel:[1,0] op_sel_hi:[0,1]
	v_pk_add_f16 v9, v11, v7
	v_bfi_b32 v7, 0xffff, v31, v29
	v_lshrrev_b32_e32 v11, 16, v23
	v_bfi_b32 v28, 0xffff, v10, v12
	v_alignbit_b32 v29, v23, v26, 16
	v_alignbit_b32 v31, v26, v23, 16
	v_pk_fma_f16 v7, 0x34f2, v30, v7 op_sel_hi:[0,1,1]
	v_lshrrev_b32_e32 v27, 16, v12
	v_lshrrev_b32_e32 v12, 16, v26
	ds_write2_b32 v24, v9, v28 offset1:1
	ds_write2_b32 v24, v31, v29 offset0:2 offset1:3
	v_lshrrev_b32_e32 v28, 16, v7
	ds_write_b32 v24, v7 offset:16
	s_waitcnt lgkmcnt(0)
	s_barrier
	buffer_gl0_inv
	s_and_saveexec_b32 s0, vcc_lo
	s_cbranch_execz .LBB0_7
; %bb.6:
	ds_read2_b32 v[9:10], v17 offset1:5
	ds_read2_b32 v[11:12], v17 offset0:10 offset1:15
	ds_read2_b32 v[7:8], v17 offset0:20 offset1:25
	ds_read_b32 v14, v17 offset:120
	s_waitcnt lgkmcnt(3)
	v_lshrrev_b32_e32 v27, 16, v10
	s_waitcnt lgkmcnt(2)
	v_lshrrev_b32_e32 v26, 16, v11
	v_lshrrev_b32_e32 v23, 16, v12
	s_waitcnt lgkmcnt(1)
	v_lshrrev_b32_e32 v28, 16, v7
	;; [unrolled: 3-line block ×3, first 2 shown]
.LBB0_7:
	s_or_b32 exec_lo, exec_lo, s0
	s_and_saveexec_b32 s0, vcc_lo
	s_cbranch_execz .LBB0_9
; %bb.8:
	v_mul_f16_sdwa v24, v0, v27 dst_sel:DWORD dst_unused:UNUSED_PAD src0_sel:WORD_1 src1_sel:DWORD
	v_mul_f16_sdwa v29, v3, v28 dst_sel:DWORD dst_unused:UNUSED_PAD src0_sel:WORD_1 src1_sel:DWORD
	;; [unrolled: 1-line block ×5, first 2 shown]
	v_fmac_f16_e32 v24, v0, v10
	v_mul_f16_sdwa v10, v0, v10 dst_sel:DWORD dst_unused:UNUSED_PAD src0_sel:WORD_1 src1_sel:DWORD
	v_mul_f16_sdwa v30, v2, v23 dst_sel:DWORD dst_unused:UNUSED_PAD src0_sel:WORD_1 src1_sel:DWORD
	v_fmac_f16_e32 v29, v3, v7
	v_fmac_f16_e32 v31, v1, v11
	v_fmac_f16_e32 v32, v5, v8
	v_fmac_f16_e32 v33, v6, v14
	v_mul_f16_sdwa v14, v6, v14 dst_sel:DWORD dst_unused:UNUSED_PAD src0_sel:WORD_1 src1_sel:DWORD
	v_mul_f16_sdwa v8, v5, v8 dst_sel:DWORD dst_unused:UNUSED_PAD src0_sel:WORD_1 src1_sel:DWORD
	;; [unrolled: 1-line block ×3, first 2 shown]
	v_fma_f16 v0, v0, v27, -v10
	v_mul_f16_sdwa v10, v2, v12 dst_sel:DWORD dst_unused:UNUSED_PAD src0_sel:WORD_1 src1_sel:DWORD
	v_mul_f16_sdwa v7, v3, v7 dst_sel:DWORD dst_unused:UNUSED_PAD src0_sel:WORD_1 src1_sel:DWORD
	v_fmac_f16_e32 v30, v2, v12
	v_fma_f16 v6, v6, v25, -v14
	v_fma_f16 v5, v5, v13, -v8
	;; [unrolled: 1-line block ×5, first 2 shown]
	v_sub_f16_e32 v34, v29, v30
	v_sub_f16_e32 v35, v31, v32
	;; [unrolled: 1-line block ×3, first 2 shown]
	v_add_f16_e32 v11, v6, v0
	v_add_f16_e32 v7, v5, v1
	;; [unrolled: 1-line block ×6, first 2 shown]
	v_sub_f16_e32 v37, v34, v35
	v_add_f16_e32 v13, v7, v11
	v_sub_f16_e32 v23, v11, v12
	v_add_f16_e32 v29, v26, v24
	v_sub_f16_e32 v31, v24, v27
	v_sub_f16_e32 v2, v3, v2
	;; [unrolled: 1-line block ×6, first 2 shown]
	v_mul_f16_e32 v25, 0x3846, v37
	v_add_f16_e32 v8, v34, v35
	v_add_f16_e32 v13, v12, v13
	v_sub_f16_e32 v12, v12, v7
	v_mul_f16_e32 v23, 0x3a52, v23
	v_add_f16_e32 v29, v27, v29
	v_mul_f16_e32 v3, 0x3a52, v31
	v_sub_f16_e32 v6, v2, v1
	v_sub_f16_e32 v31, v0, v2
	v_add_f16_e32 v2, v2, v1
	v_mul_f16_e32 v35, 0xbb00, v33
	v_sub_f16_e32 v7, v7, v11
	v_sub_f16_e32 v1, v1, v0
	;; [unrolled: 1-line block ×3, first 2 shown]
	v_fmamk_f16 v10, v14, 0xb574, v25
	v_add_f16_sdwa v28, v9, v13 dst_sel:DWORD dst_unused:UNUSED_PAD src0_sel:WORD_1 src1_sel:DWORD
	v_mul_f16_e32 v30, 0x2b26, v12
	v_fmamk_f16 v12, v12, 0x2b26, v23
	v_add_f16_e32 v9, v9, v29
	v_mul_f16_e32 v6, 0x3846, v6
	v_sub_f16_e32 v11, v26, v24
	v_add_f16_e32 v0, v2, v0
	v_fma_f16 v2, v14, 0x3574, -v35
	v_fma_f16 v14, v7, 0xb9e0, -v23
	v_mul_f16_e32 v23, 0xbb00, v1
	v_fmamk_f16 v27, v5, 0x2b26, v3
	v_mul_f16_e32 v5, 0x2b26, v5
	v_add_f16_e32 v8, v8, v36
	v_fmamk_f16 v13, v13, 0xbcab, v28
	v_fmamk_f16 v29, v29, 0xbcab, v9
	;; [unrolled: 1-line block ×3, first 2 shown]
	v_fma_f16 v3, v11, 0xb9e0, -v3
	v_fma_f16 v23, v31, 0x3574, -v23
	;; [unrolled: 1-line block ×6, first 2 shown]
	v_fmac_f16_e32 v10, 0xb70e, v8
	v_add_f16_e32 v12, v12, v13
	v_add_f16_e32 v27, v27, v29
	v_fmac_f16_e32 v34, 0xb70e, v0
	v_fmac_f16_e32 v2, 0xb70e, v8
	v_add_f16_e32 v14, v14, v13
	v_add_f16_e32 v3, v3, v29
	v_fmac_f16_e32 v23, 0xb70e, v0
	v_add_f16_e32 v6, v7, v13
	v_fmac_f16_e32 v24, 0xb70e, v8
	v_fmac_f16_e32 v1, 0xb70e, v0
	v_add_f16_e32 v0, v5, v29
	v_add_f16_e32 v32, v10, v12
	;; [unrolled: 1-line block ×3, first 2 shown]
	v_sub_f16_e32 v8, v3, v23
	v_sub_f16_e32 v2, v14, v2
	;; [unrolled: 1-line block ×3, first 2 shown]
	v_add_f16_e32 v12, v34, v27
	v_add_f16_e32 v3, v23, v3
	v_sub_f16_e32 v11, v6, v24
	v_add_f16_e32 v13, v1, v0
	v_add_f16_e32 v6, v24, v6
	v_sub_f16_e32 v0, v0, v1
	v_sub_f16_e32 v5, v27, v34
	v_pack_b32_f16 v1, v9, v28
	v_lshl_add_u32 v9, v18, 2, v22
	v_pack_b32_f16 v10, v12, v10
	v_pack_b32_f16 v2, v3, v2
	;; [unrolled: 1-line block ×6, first 2 shown]
	ds_write_b32 v17, v1
	ds_write2_b32 v9, v10, v2 offset0:5 offset1:10
	ds_write2_b32 v9, v0, v3 offset0:15 offset1:20
	;; [unrolled: 1-line block ×3, first 2 shown]
.LBB0_9:
	s_or_b32 exec_lo, exec_lo, s0
	s_waitcnt lgkmcnt(0)
	s_barrier
	buffer_gl0_inv
	ds_read2_b32 v[0:1], v17 offset1:7
	ds_read2_b32 v[2:3], v17 offset0:14 offset1:21
	s_mov_b32 s4, 0x1d41d41d
	s_mov_b32 s5, 0x3f9d41d4
	ds_read_b32 v17, v17 offset:112
	s_waitcnt lgkmcnt(2)
	v_lshrrev_b32_e32 v5, 16, v0
	v_mul_f16_sdwa v6, v21, v0 dst_sel:DWORD dst_unused:UNUSED_PAD src0_sel:WORD_1 src1_sel:DWORD
	v_lshrrev_b32_e32 v7, 16, v1
	v_mul_f16_sdwa v8, v20, v1 dst_sel:DWORD dst_unused:UNUSED_PAD src0_sel:WORD_1 src1_sel:DWORD
	s_waitcnt lgkmcnt(1)
	v_lshrrev_b32_e32 v25, 16, v2
	v_mul_f16_sdwa v9, v21, v5 dst_sel:DWORD dst_unused:UNUSED_PAD src0_sel:WORD_1 src1_sel:DWORD
	v_fma_f16 v5, v21, v5, -v6
	v_mul_f16_sdwa v13, v20, v7 dst_sel:DWORD dst_unused:UNUSED_PAD src0_sel:WORD_1 src1_sel:DWORD
	v_fma_f16 v6, v20, v7, -v8
	v_mul_f16_sdwa v14, v19, v25 dst_sel:DWORD dst_unused:UNUSED_PAD src0_sel:WORD_1 src1_sel:DWORD
	v_fmac_f16_e32 v9, v21, v0
	v_cvt_f32_f16_e32 v0, v5
	v_fmac_f16_e32 v13, v20, v1
	v_cvt_f32_f16_e32 v10, v6
	v_mad_u64_u32 v[7:8], null, s10, v4, 0
	v_cvt_f32_f16_e32 v11, v9
	v_cvt_f64_f32_e32 v[5:6], v0
	v_cvt_f64_f32_e32 v[9:10], v10
	v_fmac_f16_e32 v14, v19, v2
	v_cvt_f32_f16_e32 v13, v13
	v_cvt_f64_f32_e32 v[0:1], v11
	v_mad_u64_u32 v[11:12], null, s8, v18, 0
	v_cvt_f32_f16_e32 v22, v14
	v_cvt_f64_f32_e32 v[13:14], v13
	v_mul_f16_sdwa v2, v19, v2 dst_sel:DWORD dst_unused:UNUSED_PAD src0_sel:WORD_1 src1_sel:DWORD
	v_fma_f16 v2, v19, v25, -v2
	v_mad_u64_u32 v[20:21], null, s11, v4, v[8:9]
	v_mul_f64 v[4:5], v[5:6], s[4:5]
	v_mul_f64 v[9:10], v[9:10], s[4:5]
	;; [unrolled: 1-line block ×3, first 2 shown]
	v_cvt_f64_f32_e32 v[21:22], v22
	v_mad_u64_u32 v[23:24], null, s9, v18, v[12:13]
	v_mov_b32_e32 v8, v20
	v_mul_f64 v[13:14], v[13:14], s[4:5]
	v_lshlrev_b64 v[6:7], 2, v[7:8]
	v_mov_b32_e32 v12, v23
	v_add_co_u32 v18, vcc_lo, s2, v6
	v_add_co_ci_u32_e32 v19, vcc_lo, s3, v7, vcc_lo
	v_and_or_b32 v4, 0x1ff, v5, v4
	v_and_or_b32 v9, 0x1ff, v10, v9
	;; [unrolled: 1-line block ×3, first 2 shown]
	v_lshrrev_b32_e32 v23, 8, v1
	v_bfe_u32 v24, v1, 20, 11
	v_cmp_ne_u32_e32 vcc_lo, 0, v4
	v_mul_f64 v[6:7], v[21:22], s[4:5]
	v_lshrrev_b32_e32 v8, 8, v5
	v_and_or_b32 v13, 0x1ff, v14, v13
	v_bfe_u32 v20, v5, 20, 11
	v_cndmask_b32_e64 v4, 0, 1, vcc_lo
	v_cmp_ne_u32_e32 vcc_lo, 0, v9
	v_bfe_u32 v22, v10, 20, 11
	v_sub_nc_u32_e32 v29, 0x3f1, v24
	v_lshrrev_b32_e32 v21, 8, v10
	v_sub_nc_u32_e32 v25, 0x3f1, v20
	v_cndmask_b32_e64 v9, 0, 1, vcc_lo
	v_cmp_ne_u32_e32 vcc_lo, 0, v0
	v_lshrrev_b32_e32 v26, 8, v14
	v_bfe_u32 v27, v14, 20, 11
	v_sub_nc_u32_e32 v28, 0x3f1, v22
	v_and_or_b32 v4, 0xffe, v8, v4
	v_cndmask_b32_e64 v0, 0, 1, vcc_lo
	v_cmp_ne_u32_e32 vcc_lo, 0, v13
	v_add_nc_u32_e32 v20, 0xfffffc10, v20
	v_med3_i32 v8, v25, 0, 13
	v_sub_nc_u32_e32 v25, 0x3f1, v27
	v_and_or_b32 v0, 0xffe, v23, v0
	v_cndmask_b32_e64 v13, 0, 1, vcc_lo
	v_med3_i32 v23, v29, 0, 13
	v_and_or_b32 v9, 0xffe, v21, v9
	v_med3_i32 v21, v28, 0, 13
	v_or_b32_e32 v30, 0x1000, v0
	v_or_b32_e32 v28, 0x1000, v4
	v_cmp_ne_u32_e32 vcc_lo, 0, v4
	v_and_or_b32 v13, 0xffe, v26, v13
	v_add_nc_u32_e32 v24, 0xfffffc10, v24
	v_lshrrev_b32_e32 v26, v23, v30
	v_lshl_or_b32 v29, v20, 12, v4
	v_cndmask_b32_e64 v4, 0, 1, vcc_lo
	v_med3_i32 v25, v25, 0, 13
	v_lshrrev_b32_e32 v33, v8, v28
	v_or_b32_e32 v34, 0x1000, v13
	v_lshlrev_b32_e32 v23, v23, v26
	v_cmp_ne_u32_e32 vcc_lo, 0, v0
	v_lshl_or_b32 v32, v24, 12, v0
	v_lshlrev_b32_e32 v8, v8, v33
	v_lshrrev_b32_e32 v35, v25, v34
	v_add_nc_u32_e32 v27, 0xfffffc10, v27
	v_cndmask_b32_e64 v0, 0, 1, vcc_lo
	v_cmp_ne_u32_e32 vcc_lo, v23, v30
	v_lshrrev_b32_e32 v1, 16, v1
	v_lshlrev_b32_e32 v25, v25, v35
	v_or_b32_e32 v31, 0x1000, v9
	v_lshl_or_b32 v0, v0, 9, 0x7c00
	v_cndmask_b32_e64 v23, 0, 1, vcc_lo
	v_cmp_ne_u32_e32 vcc_lo, v8, v28
	v_lshl_or_b32 v28, v27, 12, v13
	v_lshl_or_b32 v4, v4, 9, 0x7c00
	v_lshrrev_b32_e32 v5, 16, v5
	v_or_b32_e32 v23, v26, v23
	v_cndmask_b32_e64 v8, 0, 1, vcc_lo
	v_cmp_ne_u32_e32 vcc_lo, v25, v34
	v_lshrrev_b32_e32 v30, v21, v31
	v_lshrrev_b32_e32 v14, 16, v14
	;; [unrolled: 1-line block ×3, first 2 shown]
	v_or_b32_e32 v8, v33, v8
	v_cndmask_b32_e64 v25, 0, 1, vcc_lo
	v_cmp_gt_i32_e32 vcc_lo, 1, v24
	v_lshlrev_b32_e32 v21, v21, v30
	s_mul_i32 s3, s8, 28
	v_or_b32_e32 v25, v35, v25
	v_cndmask_b32_e32 v23, v32, v23, vcc_lo
	v_cmp_gt_i32_e32 vcc_lo, 1, v20
	v_and_b32_e32 v26, 7, v23
	v_cndmask_b32_e32 v8, v29, v8, vcc_lo
	v_cmp_gt_i32_e32 vcc_lo, 1, v27
	v_lshrrev_b32_e32 v23, 2, v23
	v_cmp_eq_u32_e64 s0, 3, v26
	v_and_b32_e32 v29, 7, v8
	v_cndmask_b32_e32 v25, v28, v25, vcc_lo
	v_cmp_lt_i32_e32 vcc_lo, 5, v26
	v_lshrrev_b32_e32 v8, 2, v8
	v_cmp_lt_i32_e64 s1, 5, v29
	v_cmp_eq_u32_e64 s2, 3, v29
	s_or_b32 vcc_lo, s0, vcc_lo
	v_cmp_gt_i32_e64 s0, 31, v20
	v_add_co_ci_u32_e32 v23, vcc_lo, 0, v23, vcc_lo
	s_or_b32 vcc_lo, s2, s1
	v_and_b32_e32 v26, 7, v25
	v_add_co_ci_u32_e32 v8, vcc_lo, 0, v8, vcc_lo
	v_cmp_gt_i32_e32 vcc_lo, 31, v24
	v_cmp_eq_u32_e64 s1, 0x40f, v20
	v_add_nc_u32_e32 v20, 0xfffffc10, v22
	v_cndmask_b32_e64 v8, 0x7c00, v8, s0
	v_cmp_eq_u32_e64 s0, 0x40f, v24
	v_cndmask_b32_e32 v23, 0x7c00, v23, vcc_lo
	v_cmp_lt_i32_e32 vcc_lo, 5, v26
	v_bfe_u32 v22, v7, 20, 11
	v_cndmask_b32_e64 v4, v8, v4, s1
	s_mul_i32 s1, s9, 28
	v_cndmask_b32_e64 v0, v23, v0, s0
	v_cmp_eq_u32_e64 s0, 3, v26
	v_lshrrev_b32_e32 v23, 2, v25
	v_and_or_b32 v4, 0x8000, v5, v4
	s_mul_hi_u32 s2, s8, 28
	v_and_or_b32 v0, 0x8000, v1, v0
	s_or_b32 vcc_lo, s0, vcc_lo
	s_add_i32 s2, s2, s1
	v_add_co_ci_u32_e32 v1, vcc_lo, 0, v23, vcc_lo
	v_cmp_ne_u32_e32 vcc_lo, 0, v13
	v_and_b32_e32 v0, 0xffff, v0
	v_cndmask_b32_e64 v5, 0, 1, vcc_lo
	v_cmp_gt_i32_e32 vcc_lo, 31, v27
	v_lshl_or_b32 v13, v4, 16, v0
	v_lshl_or_b32 v4, v5, 9, 0x7c00
	v_cndmask_b32_e32 v8, 0x7c00, v1, vcc_lo
	v_cmp_ne_u32_e32 vcc_lo, v21, v31
	v_cvt_f32_f16_e32 v1, v2
	v_and_or_b32 v2, 0x1ff, v7, v6
	v_lshl_or_b32 v6, v20, 12, v9
	v_lshrrev_b32_e32 v21, 8, v7
	v_cndmask_b32_e64 v0, 0, 1, vcc_lo
	v_cmp_ne_u32_e32 vcc_lo, 0, v2
	v_or_b32_e32 v5, v30, v0
	v_cvt_f64_f32_e32 v[0:1], v1
	v_cndmask_b32_e64 v2, 0, 1, vcc_lo
	v_cmp_gt_i32_e32 vcc_lo, 1, v20
	v_and_or_b32 v2, 0xffe, v21, v2
	v_cndmask_b32_e32 v6, v6, v5, vcc_lo
	v_cmp_eq_u32_e32 vcc_lo, 0x40f, v27
	v_sub_nc_u32_e32 v21, 0x3f1, v22
	v_and_b32_e32 v23, 7, v6
	v_cndmask_b32_e32 v8, v8, v4, vcc_lo
	v_lshrrev_b32_e32 v6, 2, v6
	v_lshlrev_b64 v[4:5], 2, v[11:12]
	v_or_b32_e32 v11, 0x1000, v2
	v_cmp_lt_i32_e32 vcc_lo, 5, v23
	v_cmp_eq_u32_e64 s0, 3, v23
	v_med3_i32 v12, v21, 0, 13
	v_and_or_b32 v14, 0x8000, v14, v8
	v_lshrrev_b32_e32 v21, 16, v3
	v_mul_f64 v[0:1], v[0:1], s[4:5]
	s_or_b32 vcc_lo, s0, vcc_lo
	v_lshrrev_b32_e32 v8, v12, v11
	v_add_co_ci_u32_e32 v6, vcc_lo, 0, v6, vcc_lo
	v_cmp_ne_u32_e32 vcc_lo, 0, v9
	v_mul_f16_sdwa v23, v16, v21 dst_sel:DWORD dst_unused:UNUSED_PAD src0_sel:WORD_1 src1_sel:DWORD
	v_lshlrev_b32_e32 v12, v12, v8
	v_cndmask_b32_e64 v9, 0, 1, vcc_lo
	v_cmp_gt_i32_e32 vcc_lo, 31, v20
	v_fmac_f16_e32 v23, v16, v3
	v_mul_f16_sdwa v3, v16, v3 dst_sel:DWORD dst_unused:UNUSED_PAD src0_sel:WORD_1 src1_sel:DWORD
	v_lshl_or_b32 v9, v9, 9, 0x7c00
	v_cndmask_b32_e32 v6, 0x7c00, v6, vcc_lo
	v_cmp_ne_u32_e32 vcc_lo, v12, v11
	v_add_nc_u32_e32 v12, 0xfffffc10, v22
	v_cvt_f32_f16_e32 v22, v23
	v_fma_f16 v3, v16, v21, -v3
	v_cndmask_b32_e64 v11, 0, 1, vcc_lo
	v_cmp_eq_u32_e32 vcc_lo, 0x40f, v20
	v_lshl_or_b32 v20, v12, 12, v2
	v_and_or_b32 v0, 0x1ff, v1, v0
	v_or_b32_e32 v11, v8, v11
	v_cndmask_b32_e32 v6, v6, v9, vcc_lo
	v_cvt_f64_f32_e32 v[8:9], v22
	v_cmp_gt_i32_e32 vcc_lo, 1, v12
	v_and_or_b32 v6, 0x8000, v10, v6
	v_and_b32_e32 v10, 0xffff, v14
	v_cndmask_b32_e32 v11, v20, v11, vcc_lo
	v_cmp_ne_u32_e32 vcc_lo, 0, v0
	v_lshrrev_b32_e32 v14, 8, v1
	v_bfe_u32 v20, v1, 20, 11
	v_cndmask_b32_e64 v0, 0, 1, vcc_lo
	v_add_co_u32 v4, vcc_lo, v18, v4
	v_and_b32_e32 v18, 7, v11
	v_add_co_ci_u32_e32 v5, vcc_lo, v19, v5, vcc_lo
	v_and_or_b32 v0, 0xffe, v14, v0
	v_lshl_or_b32 v14, v6, 16, v10
	v_sub_nc_u32_e32 v6, 0x3f1, v20
	v_cmp_lt_i32_e32 vcc_lo, 5, v18
	v_cmp_eq_u32_e64 s0, 3, v18
	v_mul_f64 v[8:9], v[8:9], s[4:5]
	v_lshrrev_b32_e32 v11, 2, v11
	v_or_b32_e32 v10, 0x1000, v0
	v_med3_i32 v6, v6, 0, 13
	s_or_b32 vcc_lo, s0, vcc_lo
	v_add_nc_u32_e32 v19, 0xfffffc10, v20
	v_add_co_ci_u32_e32 v11, vcc_lo, 0, v11, vcc_lo
	v_lshrrev_b32_e32 v18, v6, v10
	v_cmp_ne_u32_e32 vcc_lo, 0, v2
	v_lshlrev_b32_e32 v6, v6, v18
	v_cndmask_b32_e64 v2, 0, 1, vcc_lo
	v_cmp_gt_i32_e32 vcc_lo, 31, v12
	v_lshl_or_b32 v2, v2, 9, 0x7c00
	v_cndmask_b32_e32 v11, 0x7c00, v11, vcc_lo
	v_cmp_ne_u32_e32 vcc_lo, v6, v10
	v_and_or_b32 v8, 0x1ff, v9, v8
	v_bfe_u32 v16, v9, 20, 11
	v_cndmask_b32_e64 v6, 0, 1, vcc_lo
	v_cmp_eq_u32_e32 vcc_lo, 0x40f, v12
	v_lshrrev_b32_e32 v12, 8, v9
	v_lshrrev_b32_e32 v9, 16, v9
	v_or_b32_e32 v6, v18, v6
	v_cndmask_b32_e32 v10, v11, v2, vcc_lo
	v_cmp_ne_u32_e32 vcc_lo, 0, v8
	v_cvt_f32_f16_e32 v2, v3
	v_lshl_or_b32 v11, v19, 12, v0
	v_lshrrev_b32_e32 v18, 16, v7
	v_cndmask_b32_e64 v8, 0, 1, vcc_lo
	v_cmp_gt_i32_e32 vcc_lo, 1, v19
	v_cvt_f64_f32_e32 v[2:3], v2
	v_and_or_b32 v18, 0x8000, v18, v10
	v_and_or_b32 v8, 0xffe, v12, v8
	v_cndmask_b32_e32 v11, v11, v6, vcc_lo
	v_sub_nc_u32_e32 v6, 0x3f1, v16
	s_waitcnt lgkmcnt(0)
	v_lshrrev_b32_e32 v12, 16, v17
	v_add_nc_u32_e32 v16, 0xfffffc10, v16
	v_or_b32_e32 v21, 0x1000, v8
	v_and_b32_e32 v20, 7, v11
	v_med3_i32 v22, v6, 0, 13
	v_mul_f16_sdwa v23, v15, v12 dst_sel:DWORD dst_unused:UNUSED_PAD src0_sel:WORD_1 src1_sel:DWORD
	v_add_co_u32 v6, vcc_lo, v4, s3
	v_add_co_ci_u32_e32 v7, vcc_lo, s2, v5, vcc_lo
	v_lshrrev_b32_e32 v24, v22, v21
	v_fmac_f16_e32 v23, v15, v17
	v_cmp_lt_i32_e32 vcc_lo, 5, v20
	v_cmp_eq_u32_e64 s0, 3, v20
	v_lshrrev_b32_e32 v10, 2, v11
	v_lshlrev_b32_e32 v20, v22, v24
	v_cvt_f32_f16_e32 v11, v23
	v_mul_f64 v[2:3], v[2:3], s[4:5]
	s_or_b32 vcc_lo, s0, vcc_lo
	v_mul_f16_sdwa v17, v15, v17 dst_sel:DWORD dst_unused:UNUSED_PAD src0_sel:WORD_1 src1_sel:DWORD
	v_add_co_ci_u32_e32 v22, vcc_lo, 0, v10, vcc_lo
	v_cmp_ne_u32_e32 vcc_lo, v20, v21
	v_cvt_f64_f32_e32 v[10:11], v11
	v_lshl_or_b32 v21, v16, 12, v8
	v_fma_f16 v12, v15, v12, -v17
	v_and_b32_e32 v18, 0xffff, v18
	v_cndmask_b32_e64 v20, 0, 1, vcc_lo
	v_cmp_ne_u32_e32 vcc_lo, 0, v0
	v_cvt_f32_f16_e32 v12, v12
	v_or_b32_e32 v20, v24, v20
	v_cndmask_b32_e64 v0, 0, 1, vcc_lo
	v_cmp_gt_i32_e32 vcc_lo, 31, v19
	v_lshl_or_b32 v0, v0, 9, 0x7c00
	v_cndmask_b32_e32 v15, 0x7c00, v22, vcc_lo
	v_cmp_gt_i32_e32 vcc_lo, 1, v16
	v_and_or_b32 v2, 0x1ff, v3, v2
	v_cndmask_b32_e32 v17, v21, v20, vcc_lo
	v_cmp_eq_u32_e32 vcc_lo, 0x40f, v19
	v_mul_f64 v[10:11], v[10:11], s[4:5]
	v_lshrrev_b32_e32 v19, 16, v1
	v_lshrrev_b32_e32 v20, 8, v3
	v_bfe_u32 v21, v3, 20, 11
	v_cndmask_b32_e32 v15, v15, v0, vcc_lo
	v_cvt_f64_f32_e32 v[0:1], v12
	v_cmp_ne_u32_e32 vcc_lo, 0, v2
	v_and_b32_e32 v12, 7, v17
	v_lshrrev_b32_e32 v3, 16, v3
	v_and_or_b32 v15, 0x8000, v19, v15
	v_sub_nc_u32_e32 v19, 0x3f1, v21
	v_cndmask_b32_e64 v2, 0, 1, vcc_lo
	v_cmp_lt_i32_e32 vcc_lo, 5, v12
	v_cmp_eq_u32_e64 s0, 3, v12
	v_lshl_or_b32 v12, v15, 16, v18
	v_lshrrev_b32_e32 v15, 2, v17
	v_and_or_b32 v2, 0xffe, v20, v2
	v_med3_i32 v18, v19, 0, 13
	s_or_b32 vcc_lo, s0, vcc_lo
	v_add_co_ci_u32_e32 v15, vcc_lo, 0, v15, vcc_lo
	v_or_b32_e32 v17, 0x1000, v2
	v_cmp_ne_u32_e32 vcc_lo, 0, v8
	v_and_or_b32 v10, 0x1ff, v11, v10
	v_lshrrev_b32_e32 v20, 8, v11
	v_bfe_u32 v22, v11, 20, 11
	v_lshrrev_b32_e32 v19, v18, v17
	v_cndmask_b32_e64 v8, 0, 1, vcc_lo
	v_cmp_gt_i32_e32 vcc_lo, 31, v16
	v_mul_f64 v[0:1], v[0:1], s[4:5]
	v_lshrrev_b32_e32 v11, 16, v11
	v_lshlrev_b32_e32 v18, v18, v19
	v_lshl_or_b32 v8, v8, 9, 0x7c00
	v_cndmask_b32_e32 v15, 0x7c00, v15, vcc_lo
	v_cmp_ne_u32_e32 vcc_lo, 0, v10
	v_cndmask_b32_e64 v10, 0, 1, vcc_lo
	v_cmp_ne_u32_e32 vcc_lo, v18, v17
	v_add_nc_u32_e32 v18, 0xfffffc10, v21
	v_and_or_b32 v10, 0xffe, v20, v10
	v_cndmask_b32_e64 v17, 0, 1, vcc_lo
	v_sub_nc_u32_e32 v20, 0x3f1, v22
	v_cmp_eq_u32_e32 vcc_lo, 0x40f, v16
	v_lshl_or_b32 v16, v18, 12, v2
	v_and_or_b32 v0, 0x1ff, v1, v0
	v_cndmask_b32_e32 v8, v15, v8, vcc_lo
	v_or_b32_e32 v15, v19, v17
	v_or_b32_e32 v17, 0x1000, v10
	v_med3_i32 v19, v20, 0, 13
	v_cmp_gt_i32_e32 vcc_lo, 1, v18
	v_lshrrev_b32_e32 v20, 8, v1
	v_bfe_u32 v21, v1, 20, 11
	v_and_or_b32 v8, 0x8000, v9, v8
	v_cndmask_b32_e32 v15, v16, v15, vcc_lo
	v_lshrrev_b32_e32 v16, v19, v17
	v_cmp_ne_u32_e32 vcc_lo, 0, v0
	v_sub_nc_u32_e32 v9, 0x3f1, v21
	v_and_b32_e32 v23, 7, v15
	v_lshlrev_b32_e32 v19, v19, v16
	v_cndmask_b32_e64 v0, 0, 1, vcc_lo
	v_lshrrev_b32_e32 v15, 2, v15
	v_med3_i32 v9, v9, 0, 13
	v_cmp_lt_i32_e32 vcc_lo, 5, v23
	v_cmp_ne_u32_e64 s0, v19, v17
	v_and_or_b32 v0, 0xffe, v20, v0
	v_add_nc_u32_e32 v20, 0xfffffc10, v22
	v_cndmask_b32_e64 v17, 0, 1, s0
	v_cmp_eq_u32_e64 s0, 3, v23
	v_or_b32_e32 v19, 0x1000, v0
	v_lshl_or_b32 v22, v20, 12, v10
	v_or_b32_e32 v16, v16, v17
	s_or_b32 vcc_lo, s0, vcc_lo
	v_lshrrev_b32_e32 v17, v9, v19
	v_add_co_ci_u32_e32 v15, vcc_lo, 0, v15, vcc_lo
	v_cmp_gt_i32_e32 vcc_lo, 1, v20
	v_lshlrev_b32_e32 v9, v9, v17
	v_cndmask_b32_e32 v16, v22, v16, vcc_lo
	v_cmp_ne_u32_e32 vcc_lo, 0, v2
	v_cndmask_b32_e64 v2, 0, 1, vcc_lo
	v_cmp_ne_u32_e32 vcc_lo, v9, v19
	v_add_nc_u32_e32 v19, 0xfffffc10, v21
	v_and_b32_e32 v21, 7, v16
	v_lshl_or_b32 v2, v2, 9, 0x7c00
	v_cndmask_b32_e64 v9, 0, 1, vcc_lo
	v_cmp_gt_i32_e32 vcc_lo, 31, v18
	v_cmp_gt_i32_e64 s1, 1, v19
	v_cmp_eq_u32_e64 s0, 3, v21
	v_or_b32_e32 v9, v17, v9
	v_lshl_or_b32 v17, v19, 12, v0
	v_cndmask_b32_e32 v15, 0x7c00, v15, vcc_lo
	v_cmp_lt_i32_e32 vcc_lo, 5, v21
	v_cndmask_b32_e64 v9, v17, v9, s1
	v_cmp_eq_u32_e64 s1, 0x40f, v18
	s_or_b32 vcc_lo, s0, vcc_lo
	v_cndmask_b32_e64 v2, v15, v2, s1
	v_lshrrev_b32_e32 v15, 2, v16
	v_and_b32_e32 v16, 7, v9
	v_lshrrev_b32_e32 v9, 2, v9
	v_cmp_gt_i32_e64 s1, 31, v20
	v_and_or_b32 v2, 0x8000, v3, v2
	v_add_co_ci_u32_e32 v15, vcc_lo, 0, v15, vcc_lo
	v_cmp_ne_u32_e32 vcc_lo, 0, v10
	v_cmp_eq_u32_e64 s0, 3, v16
	v_and_b32_e32 v3, 0xffff, v8
	v_cndmask_b32_e64 v15, 0x7c00, v15, s1
	v_cndmask_b32_e64 v10, 0, 1, vcc_lo
	v_cmp_lt_i32_e32 vcc_lo, 5, v16
	v_lshl_or_b32 v10, v10, 9, 0x7c00
	s_or_b32 vcc_lo, s0, vcc_lo
	v_add_co_ci_u32_e32 v9, vcc_lo, 0, v9, vcc_lo
	v_cmp_ne_u32_e32 vcc_lo, 0, v0
	v_cndmask_b32_e64 v0, 0, 1, vcc_lo
	v_cmp_eq_u32_e32 vcc_lo, 0x40f, v20
	v_lshl_or_b32 v0, v0, 9, 0x7c00
	v_cndmask_b32_e32 v10, v15, v10, vcc_lo
	v_cmp_gt_i32_e32 vcc_lo, 31, v19
	v_and_or_b32 v8, 0x8000, v11, v10
	v_cndmask_b32_e32 v9, 0x7c00, v9, vcc_lo
	v_cmp_eq_u32_e32 vcc_lo, 0x40f, v19
	v_lshrrev_b32_e32 v10, 16, v1
	v_lshl_or_b32 v11, v2, 16, v3
	v_and_b32_e32 v8, 0xffff, v8
	v_cndmask_b32_e32 v9, v9, v0, vcc_lo
	v_add_co_u32 v0, vcc_lo, v6, s3
	v_add_co_ci_u32_e32 v1, vcc_lo, s2, v7, vcc_lo
	v_and_or_b32 v9, 0x8000, v10, v9
	v_add_co_u32 v2, vcc_lo, v0, s3
	v_add_co_ci_u32_e32 v3, vcc_lo, s2, v1, vcc_lo
	v_lshl_or_b32 v10, v9, 16, v8
	v_add_co_u32 v8, vcc_lo, v2, s3
	v_add_co_ci_u32_e32 v9, vcc_lo, s2, v3, vcc_lo
	global_store_dword v[4:5], v13, off
	global_store_dword v[6:7], v14, off
	;; [unrolled: 1-line block ×5, first 2 shown]
.LBB0_10:
	s_endpgm
	.section	.rodata,"a",@progbits
	.p2align	6, 0x0
	.amdhsa_kernel bluestein_single_back_len35_dim1_half_op_CI_CI
		.amdhsa_group_segment_fixed_size 5040
		.amdhsa_private_segment_fixed_size 0
		.amdhsa_kernarg_size 104
		.amdhsa_user_sgpr_count 6
		.amdhsa_user_sgpr_private_segment_buffer 1
		.amdhsa_user_sgpr_dispatch_ptr 0
		.amdhsa_user_sgpr_queue_ptr 0
		.amdhsa_user_sgpr_kernarg_segment_ptr 1
		.amdhsa_user_sgpr_dispatch_id 0
		.amdhsa_user_sgpr_flat_scratch_init 0
		.amdhsa_user_sgpr_private_segment_size 0
		.amdhsa_wavefront_size32 1
		.amdhsa_uses_dynamic_stack 0
		.amdhsa_system_sgpr_private_segment_wavefront_offset 0
		.amdhsa_system_sgpr_workgroup_id_x 1
		.amdhsa_system_sgpr_workgroup_id_y 0
		.amdhsa_system_sgpr_workgroup_id_z 0
		.amdhsa_system_sgpr_workgroup_info 0
		.amdhsa_system_vgpr_workitem_id 0
		.amdhsa_next_free_vgpr 45
		.amdhsa_next_free_sgpr 20
		.amdhsa_reserve_vcc 1
		.amdhsa_reserve_flat_scratch 0
		.amdhsa_float_round_mode_32 0
		.amdhsa_float_round_mode_16_64 0
		.amdhsa_float_denorm_mode_32 3
		.amdhsa_float_denorm_mode_16_64 3
		.amdhsa_dx10_clamp 1
		.amdhsa_ieee_mode 1
		.amdhsa_fp16_overflow 0
		.amdhsa_workgroup_processor_mode 1
		.amdhsa_memory_ordered 1
		.amdhsa_forward_progress 0
		.amdhsa_shared_vgpr_count 0
		.amdhsa_exception_fp_ieee_invalid_op 0
		.amdhsa_exception_fp_denorm_src 0
		.amdhsa_exception_fp_ieee_div_zero 0
		.amdhsa_exception_fp_ieee_overflow 0
		.amdhsa_exception_fp_ieee_underflow 0
		.amdhsa_exception_fp_ieee_inexact 0
		.amdhsa_exception_int_div_zero 0
	.end_amdhsa_kernel
	.text
.Lfunc_end0:
	.size	bluestein_single_back_len35_dim1_half_op_CI_CI, .Lfunc_end0-bluestein_single_back_len35_dim1_half_op_CI_CI
                                        ; -- End function
	.section	.AMDGPU.csdata,"",@progbits
; Kernel info:
; codeLenInByte = 6516
; NumSgprs: 22
; NumVgprs: 45
; ScratchSize: 0
; MemoryBound: 0
; FloatMode: 240
; IeeeMode: 1
; LDSByteSize: 5040 bytes/workgroup (compile time only)
; SGPRBlocks: 2
; VGPRBlocks: 5
; NumSGPRsForWavesPerEU: 22
; NumVGPRsForWavesPerEU: 45
; Occupancy: 16
; WaveLimiterHint : 1
; COMPUTE_PGM_RSRC2:SCRATCH_EN: 0
; COMPUTE_PGM_RSRC2:USER_SGPR: 6
; COMPUTE_PGM_RSRC2:TRAP_HANDLER: 0
; COMPUTE_PGM_RSRC2:TGID_X_EN: 1
; COMPUTE_PGM_RSRC2:TGID_Y_EN: 0
; COMPUTE_PGM_RSRC2:TGID_Z_EN: 0
; COMPUTE_PGM_RSRC2:TIDIG_COMP_CNT: 0
	.text
	.p2alignl 6, 3214868480
	.fill 48, 4, 3214868480
	.type	__hip_cuid_defd7a09c37f635e,@object ; @__hip_cuid_defd7a09c37f635e
	.section	.bss,"aw",@nobits
	.globl	__hip_cuid_defd7a09c37f635e
__hip_cuid_defd7a09c37f635e:
	.byte	0                               ; 0x0
	.size	__hip_cuid_defd7a09c37f635e, 1

	.ident	"AMD clang version 19.0.0git (https://github.com/RadeonOpenCompute/llvm-project roc-6.4.0 25133 c7fe45cf4b819c5991fe208aaa96edf142730f1d)"
	.section	".note.GNU-stack","",@progbits
	.addrsig
	.addrsig_sym __hip_cuid_defd7a09c37f635e
	.amdgpu_metadata
---
amdhsa.kernels:
  - .args:
      - .actual_access:  read_only
        .address_space:  global
        .offset:         0
        .size:           8
        .value_kind:     global_buffer
      - .actual_access:  read_only
        .address_space:  global
        .offset:         8
        .size:           8
        .value_kind:     global_buffer
      - .actual_access:  read_only
        .address_space:  global
        .offset:         16
        .size:           8
        .value_kind:     global_buffer
      - .actual_access:  read_only
        .address_space:  global
        .offset:         24
        .size:           8
        .value_kind:     global_buffer
      - .actual_access:  read_only
        .address_space:  global
        .offset:         32
        .size:           8
        .value_kind:     global_buffer
      - .offset:         40
        .size:           8
        .value_kind:     by_value
      - .address_space:  global
        .offset:         48
        .size:           8
        .value_kind:     global_buffer
      - .address_space:  global
        .offset:         56
        .size:           8
        .value_kind:     global_buffer
      - .address_space:  global
        .offset:         64
        .size:           8
        .value_kind:     global_buffer
      - .address_space:  global
        .offset:         72
        .size:           8
        .value_kind:     global_buffer
      - .offset:         80
        .size:           4
        .value_kind:     by_value
      - .address_space:  global
        .offset:         88
        .size:           8
        .value_kind:     global_buffer
      - .address_space:  global
        .offset:         96
        .size:           8
        .value_kind:     global_buffer
    .group_segment_fixed_size: 5040
    .kernarg_segment_align: 8
    .kernarg_segment_size: 104
    .language:       OpenCL C
    .language_version:
      - 2
      - 0
    .max_flat_workgroup_size: 252
    .name:           bluestein_single_back_len35_dim1_half_op_CI_CI
    .private_segment_fixed_size: 0
    .sgpr_count:     22
    .sgpr_spill_count: 0
    .symbol:         bluestein_single_back_len35_dim1_half_op_CI_CI.kd
    .uniform_work_group_size: 1
    .uses_dynamic_stack: false
    .vgpr_count:     45
    .vgpr_spill_count: 0
    .wavefront_size: 32
    .workgroup_processor_mode: 1
amdhsa.target:   amdgcn-amd-amdhsa--gfx1030
amdhsa.version:
  - 1
  - 2
...

	.end_amdgpu_metadata
